;; amdgpu-corpus repo=ROCm/rocFFT kind=compiled arch=gfx906 opt=O3
	.text
	.amdgcn_target "amdgcn-amd-amdhsa--gfx906"
	.amdhsa_code_object_version 6
	.protected	fft_rtc_fwd_len132_factors_11_6_2_wgs_110_tpt_22_dp_ip_CI_unitstride_sbrr_C2R_dirReg ; -- Begin function fft_rtc_fwd_len132_factors_11_6_2_wgs_110_tpt_22_dp_ip_CI_unitstride_sbrr_C2R_dirReg
	.globl	fft_rtc_fwd_len132_factors_11_6_2_wgs_110_tpt_22_dp_ip_CI_unitstride_sbrr_C2R_dirReg
	.p2align	8
	.type	fft_rtc_fwd_len132_factors_11_6_2_wgs_110_tpt_22_dp_ip_CI_unitstride_sbrr_C2R_dirReg,@function
fft_rtc_fwd_len132_factors_11_6_2_wgs_110_tpt_22_dp_ip_CI_unitstride_sbrr_C2R_dirReg: ; @fft_rtc_fwd_len132_factors_11_6_2_wgs_110_tpt_22_dp_ip_CI_unitstride_sbrr_C2R_dirReg
; %bb.0:
	s_load_dwordx2 s[2:3], s[4:5], 0x50
	s_load_dwordx4 s[8:11], s[4:5], 0x0
	s_load_dwordx2 s[12:13], s[4:5], 0x18
	v_mul_u32_u24_e32 v1, 0xba3, v0
	v_lshrrev_b32_e32 v1, 16, v1
	v_mad_u64_u32 v[1:2], s[0:1], s6, 5, v[1:2]
	v_mov_b32_e32 v5, 0
	s_waitcnt lgkmcnt(0)
	v_cmp_lt_u64_e64 s[0:1], s[10:11], 2
	v_mov_b32_e32 v2, v5
	v_mov_b32_e32 v3, 0
	;; [unrolled: 1-line block ×3, first 2 shown]
	s_and_b64 vcc, exec, s[0:1]
	v_mov_b32_e32 v4, 0
	v_mov_b32_e32 v9, v1
	s_cbranch_vccnz .LBB0_8
; %bb.1:
	s_load_dwordx2 s[0:1], s[4:5], 0x10
	s_add_u32 s6, s12, 8
	s_addc_u32 s7, s13, 0
	v_mov_b32_e32 v3, 0
	v_mov_b32_e32 v8, v2
	s_waitcnt lgkmcnt(0)
	s_add_u32 s16, s0, 8
	s_mov_b64 s[14:15], 1
	v_mov_b32_e32 v4, 0
	s_addc_u32 s17, s1, 0
	v_mov_b32_e32 v7, v1
.LBB0_2:                                ; =>This Inner Loop Header: Depth=1
	s_load_dwordx2 s[18:19], s[16:17], 0x0
                                        ; implicit-def: $vgpr9_vgpr10
	s_waitcnt lgkmcnt(0)
	v_or_b32_e32 v6, s19, v8
	v_cmp_ne_u64_e32 vcc, 0, v[5:6]
	s_and_saveexec_b64 s[0:1], vcc
	s_xor_b64 s[20:21], exec, s[0:1]
	s_cbranch_execz .LBB0_4
; %bb.3:                                ;   in Loop: Header=BB0_2 Depth=1
	v_cvt_f32_u32_e32 v2, s18
	v_cvt_f32_u32_e32 v6, s19
	s_sub_u32 s0, 0, s18
	s_subb_u32 s1, 0, s19
	v_mac_f32_e32 v2, 0x4f800000, v6
	v_rcp_f32_e32 v2, v2
	v_mul_f32_e32 v2, 0x5f7ffffc, v2
	v_mul_f32_e32 v6, 0x2f800000, v2
	v_trunc_f32_e32 v6, v6
	v_mac_f32_e32 v2, 0xcf800000, v6
	v_cvt_u32_f32_e32 v6, v6
	v_cvt_u32_f32_e32 v2, v2
	v_mul_lo_u32 v9, s0, v6
	v_mul_hi_u32 v10, s0, v2
	v_mul_lo_u32 v12, s1, v2
	v_mul_lo_u32 v11, s0, v2
	v_add_u32_e32 v9, v10, v9
	v_add_u32_e32 v9, v9, v12
	v_mul_hi_u32 v10, v2, v11
	v_mul_lo_u32 v12, v2, v9
	v_mul_hi_u32 v14, v2, v9
	v_mul_hi_u32 v13, v6, v11
	v_mul_lo_u32 v11, v6, v11
	v_mul_hi_u32 v15, v6, v9
	v_add_co_u32_e32 v10, vcc, v10, v12
	v_addc_co_u32_e32 v12, vcc, 0, v14, vcc
	v_mul_lo_u32 v9, v6, v9
	v_add_co_u32_e32 v10, vcc, v10, v11
	v_addc_co_u32_e32 v10, vcc, v12, v13, vcc
	v_addc_co_u32_e32 v11, vcc, 0, v15, vcc
	v_add_co_u32_e32 v9, vcc, v10, v9
	v_addc_co_u32_e32 v10, vcc, 0, v11, vcc
	v_add_co_u32_e32 v2, vcc, v2, v9
	v_addc_co_u32_e32 v6, vcc, v6, v10, vcc
	v_mul_lo_u32 v9, s0, v6
	v_mul_hi_u32 v10, s0, v2
	v_mul_lo_u32 v11, s1, v2
	v_mul_lo_u32 v12, s0, v2
	v_add_u32_e32 v9, v10, v9
	v_add_u32_e32 v9, v9, v11
	v_mul_lo_u32 v13, v2, v9
	v_mul_hi_u32 v14, v2, v12
	v_mul_hi_u32 v15, v2, v9
	;; [unrolled: 1-line block ×3, first 2 shown]
	v_mul_lo_u32 v12, v6, v12
	v_mul_hi_u32 v10, v6, v9
	v_add_co_u32_e32 v13, vcc, v14, v13
	v_addc_co_u32_e32 v14, vcc, 0, v15, vcc
	v_mul_lo_u32 v9, v6, v9
	v_add_co_u32_e32 v12, vcc, v13, v12
	v_addc_co_u32_e32 v11, vcc, v14, v11, vcc
	v_addc_co_u32_e32 v10, vcc, 0, v10, vcc
	v_add_co_u32_e32 v9, vcc, v11, v9
	v_addc_co_u32_e32 v10, vcc, 0, v10, vcc
	v_add_co_u32_e32 v2, vcc, v2, v9
	v_addc_co_u32_e32 v6, vcc, v6, v10, vcc
	v_mad_u64_u32 v[9:10], s[0:1], v7, v6, 0
	v_mul_hi_u32 v11, v7, v2
	v_add_co_u32_e32 v13, vcc, v11, v9
	v_addc_co_u32_e32 v14, vcc, 0, v10, vcc
	v_mad_u64_u32 v[9:10], s[0:1], v8, v2, 0
	v_mad_u64_u32 v[11:12], s[0:1], v8, v6, 0
	v_add_co_u32_e32 v2, vcc, v13, v9
	v_addc_co_u32_e32 v2, vcc, v14, v10, vcc
	v_addc_co_u32_e32 v6, vcc, 0, v12, vcc
	v_add_co_u32_e32 v2, vcc, v2, v11
	v_addc_co_u32_e32 v6, vcc, 0, v6, vcc
	v_mul_lo_u32 v11, s19, v2
	v_mul_lo_u32 v12, s18, v6
	v_mad_u64_u32 v[9:10], s[0:1], s18, v2, 0
	v_add3_u32 v10, v10, v12, v11
	v_sub_u32_e32 v11, v8, v10
	v_mov_b32_e32 v12, s19
	v_sub_co_u32_e32 v9, vcc, v7, v9
	v_subb_co_u32_e64 v11, s[0:1], v11, v12, vcc
	v_subrev_co_u32_e64 v12, s[0:1], s18, v9
	v_subbrev_co_u32_e64 v11, s[0:1], 0, v11, s[0:1]
	v_cmp_le_u32_e64 s[0:1], s19, v11
	v_cndmask_b32_e64 v13, 0, -1, s[0:1]
	v_cmp_le_u32_e64 s[0:1], s18, v12
	v_cndmask_b32_e64 v12, 0, -1, s[0:1]
	v_cmp_eq_u32_e64 s[0:1], s19, v11
	v_cndmask_b32_e64 v11, v13, v12, s[0:1]
	v_add_co_u32_e64 v12, s[0:1], 2, v2
	v_addc_co_u32_e64 v13, s[0:1], 0, v6, s[0:1]
	v_add_co_u32_e64 v14, s[0:1], 1, v2
	v_addc_co_u32_e64 v15, s[0:1], 0, v6, s[0:1]
	v_subb_co_u32_e32 v10, vcc, v8, v10, vcc
	v_cmp_ne_u32_e64 s[0:1], 0, v11
	v_cmp_le_u32_e32 vcc, s19, v10
	v_cndmask_b32_e64 v11, v15, v13, s[0:1]
	v_cndmask_b32_e64 v13, 0, -1, vcc
	v_cmp_le_u32_e32 vcc, s18, v9
	v_cndmask_b32_e64 v9, 0, -1, vcc
	v_cmp_eq_u32_e32 vcc, s19, v10
	v_cndmask_b32_e32 v9, v13, v9, vcc
	v_cmp_ne_u32_e32 vcc, 0, v9
	v_cndmask_b32_e32 v10, v6, v11, vcc
	v_cndmask_b32_e64 v6, v14, v12, s[0:1]
	v_cndmask_b32_e32 v9, v2, v6, vcc
.LBB0_4:                                ;   in Loop: Header=BB0_2 Depth=1
	s_andn2_saveexec_b64 s[0:1], s[20:21]
	s_cbranch_execz .LBB0_6
; %bb.5:                                ;   in Loop: Header=BB0_2 Depth=1
	v_cvt_f32_u32_e32 v2, s18
	s_sub_i32 s20, 0, s18
	v_rcp_iflag_f32_e32 v2, v2
	v_mul_f32_e32 v2, 0x4f7ffffe, v2
	v_cvt_u32_f32_e32 v2, v2
	v_mul_lo_u32 v6, s20, v2
	v_mul_hi_u32 v6, v2, v6
	v_add_u32_e32 v2, v2, v6
	v_mul_hi_u32 v2, v7, v2
	v_mul_lo_u32 v6, v2, s18
	v_add_u32_e32 v9, 1, v2
	v_sub_u32_e32 v6, v7, v6
	v_subrev_u32_e32 v10, s18, v6
	v_cmp_le_u32_e32 vcc, s18, v6
	v_cndmask_b32_e32 v6, v6, v10, vcc
	v_cndmask_b32_e32 v2, v2, v9, vcc
	v_add_u32_e32 v9, 1, v2
	v_cmp_le_u32_e32 vcc, s18, v6
	v_cndmask_b32_e32 v9, v2, v9, vcc
	v_mov_b32_e32 v10, v5
.LBB0_6:                                ;   in Loop: Header=BB0_2 Depth=1
	s_or_b64 exec, exec, s[0:1]
	v_mul_lo_u32 v2, v10, s18
	v_mul_lo_u32 v6, v9, s19
	v_mad_u64_u32 v[11:12], s[0:1], v9, s18, 0
	s_load_dwordx2 s[0:1], s[6:7], 0x0
	s_add_u32 s14, s14, 1
	v_add3_u32 v2, v12, v6, v2
	v_sub_co_u32_e32 v6, vcc, v7, v11
	v_subb_co_u32_e32 v2, vcc, v8, v2, vcc
	s_waitcnt lgkmcnt(0)
	v_mul_lo_u32 v2, s0, v2
	v_mul_lo_u32 v7, s1, v6
	v_mad_u64_u32 v[3:4], s[0:1], s0, v6, v[3:4]
	s_addc_u32 s15, s15, 0
	s_add_u32 s6, s6, 8
	v_add3_u32 v4, v7, v4, v2
	v_mov_b32_e32 v6, s10
	v_mov_b32_e32 v7, s11
	s_addc_u32 s7, s7, 0
	v_cmp_ge_u64_e32 vcc, s[14:15], v[6:7]
	s_add_u32 s16, s16, 8
	s_addc_u32 s17, s17, 0
	s_cbranch_vccnz .LBB0_8
; %bb.7:                                ;   in Loop: Header=BB0_2 Depth=1
	v_mov_b32_e32 v7, v9
	v_mov_b32_e32 v8, v10
	s_branch .LBB0_2
.LBB0_8:
	s_lshl_b64 s[0:1], s[10:11], 3
	s_add_u32 s0, s12, s0
	s_addc_u32 s1, s13, s1
	s_load_dwordx2 s[0:1], s[0:1], 0x0
	s_mov_b32 s6, 0xcccccccd
	v_mul_hi_u32 v5, v1, s6
	s_waitcnt lgkmcnt(0)
	v_mul_lo_u32 v6, s0, v10
	v_mul_lo_u32 v7, s1, v9
	v_mad_u64_u32 v[2:3], s[0:1], s0, v9, v[3:4]
	s_load_dwordx2 s[0:1], s[4:5], 0x20
	s_mov_b32 s4, 0xba2e8bb
	v_lshrrev_b32_e32 v4, 2, v5
	v_mul_hi_u32 v5, v0, s4
	v_lshl_add_u32 v4, v4, 2, v4
	v_sub_u32_e32 v1, v1, v4
	v_add3_u32 v3, v7, v3, v6
	v_mul_u32_u24_e32 v6, 0x85, v1
	v_mul_u32_u24_e32 v1, 22, v5
	s_waitcnt lgkmcnt(0)
	v_cmp_gt_u64_e32 vcc, s[0:1], v[9:10]
	v_sub_u32_e32 v4, v0, v1
	v_lshlrev_b64 v[44:45], 4, v[2:3]
	v_mov_b32_e32 v5, 0
	v_lshlrev_b32_e32 v64, 4, v6
	v_mov_b32_e32 v46, v4
	s_and_saveexec_b64 s[4:5], vcc
	s_cbranch_execz .LBB0_12
; %bb.9:
	v_mov_b32_e32 v1, s3
	v_add_co_u32_e64 v0, s[0:1], s2, v44
	v_lshlrev_b64 v[2:3], 4, v[4:5]
	v_addc_co_u32_e64 v1, s[0:1], v1, v45, s[0:1]
	v_add_co_u32_e64 v2, s[0:1], v0, v2
	v_addc_co_u32_e64 v3, s[0:1], v1, v3, s[0:1]
	global_load_dwordx4 v[8:11], v[2:3], off
	global_load_dwordx4 v[12:15], v[2:3], off offset:352
	global_load_dwordx4 v[16:19], v[2:3], off offset:704
	;; [unrolled: 1-line block ×5, first 2 shown]
	v_lshlrev_b32_e32 v2, 4, v4
	v_add3_u32 v7, 0, v64, v2
	v_mov_b32_e32 v2, v4
	v_cmp_eq_u32_e64 s[0:1], 21, v4
	v_mov_b32_e32 v3, v5
	s_waitcnt vmcnt(5)
	ds_write_b128 v7, v[8:11]
	s_waitcnt vmcnt(4)
	ds_write_b128 v7, v[12:15] offset:352
	s_waitcnt vmcnt(3)
	ds_write_b128 v7, v[16:19] offset:704
	;; [unrolled: 2-line block ×5, first 2 shown]
	s_and_saveexec_b64 s[6:7], s[0:1]
	s_cbranch_execz .LBB0_11
; %bb.10:
	global_load_dwordx4 v[8:11], v[0:1], off offset:2112
	v_mov_b32_e32 v2, 21
	v_mov_b32_e32 v3, 0
	;; [unrolled: 1-line block ×3, first 2 shown]
	s_waitcnt vmcnt(0)
	ds_write_b128 v7, v[8:11] offset:1776
.LBB0_11:
	s_or_b64 exec, exec, s[6:7]
	v_mov_b32_e32 v46, v4
	v_mov_b32_e32 v5, v3
	;; [unrolled: 1-line block ×3, first 2 shown]
.LBB0_12:
	s_or_b64 exec, exec, s[4:5]
	v_lshl_add_u32 v65, v6, 4, 0
	v_lshlrev_b32_e32 v0, 4, v46
	v_add_u32_e32 v66, v65, v0
	s_waitcnt lgkmcnt(0)
	s_barrier
	v_sub_u32_e32 v7, v65, v0
	ds_read_b64 v[2:3], v66
	ds_read_b64 v[8:9], v7 offset:2112
	v_lshlrev_b64 v[48:49], 4, v[4:5]
	v_cmp_ne_u32_e64 s[0:1], 0, v46
	s_waitcnt lgkmcnt(0)
	v_add_f64 v[0:1], v[2:3], v[8:9]
	v_add_f64 v[2:3], v[2:3], -v[8:9]
	s_and_saveexec_b64 s[4:5], s[0:1]
	s_xor_b64 s[4:5], exec, s[4:5]
	s_cbranch_execz .LBB0_14
; %bb.13:
	v_mov_b32_e32 v5, s9
	v_add_co_u32_e64 v4, s[0:1], s8, v48
	v_addc_co_u32_e64 v5, s[0:1], v5, v49, s[0:1]
	global_load_dwordx4 v[8:11], v[4:5], off offset:1936
	ds_read_b64 v[4:5], v7 offset:2120
	ds_read_b64 v[12:13], v66 offset:8
	s_waitcnt lgkmcnt(0)
	v_add_f64 v[14:15], v[4:5], v[12:13]
	v_add_f64 v[4:5], v[12:13], -v[4:5]
	s_waitcnt vmcnt(0)
	v_fma_f64 v[12:13], v[2:3], v[10:11], v[0:1]
	v_fma_f64 v[16:17], v[14:15], v[10:11], v[4:5]
	v_fma_f64 v[0:1], -v[2:3], v[10:11], v[0:1]
	v_fma_f64 v[4:5], v[14:15], v[10:11], -v[4:5]
	v_fma_f64 v[10:11], -v[14:15], v[8:9], v[12:13]
	v_fma_f64 v[12:13], v[2:3], v[8:9], v[16:17]
	v_fma_f64 v[0:1], v[14:15], v[8:9], v[0:1]
	;; [unrolled: 1-line block ×3, first 2 shown]
	ds_write_b128 v66, v[10:13]
	ds_write_b128 v7, v[0:3] offset:2112
                                        ; implicit-def: $vgpr0_vgpr1
.LBB0_14:
	s_andn2_saveexec_b64 s[0:1], s[4:5]
	s_cbranch_execz .LBB0_16
; %bb.15:
	ds_write_b128 v66, v[0:3]
	ds_read_b128 v[0:3], v65 offset:1056
	s_waitcnt lgkmcnt(0)
	v_add_f64 v[0:1], v[0:1], v[0:1]
	v_mul_f64 v[2:3], v[2:3], -2.0
	ds_write_b128 v65, v[0:3] offset:1056
.LBB0_16:
	s_or_b64 exec, exec, s[0:1]
	v_mov_b32_e32 v47, 0
	s_add_u32 s0, s8, 0x790
	v_lshlrev_b64 v[50:51], 4, v[46:47]
	s_addc_u32 s1, s9, 0
	v_mov_b32_e32 v0, s1
	v_add_co_u32_e64 v4, s[0:1], s0, v50
	v_addc_co_u32_e64 v5, s[0:1], v0, v51, s[0:1]
	global_load_dwordx4 v[0:3], v[4:5], off offset:352
	global_load_dwordx4 v[8:11], v[4:5], off offset:704
	ds_read_b128 v[12:15], v66 offset:352
	ds_read_b128 v[16:19], v7 offset:1760
	v_lshl_add_u32 v68, v46, 4, 0
	v_lshl_add_u32 v67, v6, 4, v68
	v_cmp_gt_u32_e64 s[0:1], 12, v46
	s_waitcnt lgkmcnt(0)
	v_add_f64 v[4:5], v[12:13], v[16:17]
	v_add_f64 v[20:21], v[18:19], v[14:15]
	v_add_f64 v[16:17], v[12:13], -v[16:17]
	v_add_f64 v[12:13], v[14:15], -v[18:19]
	s_waitcnt vmcnt(1)
	v_fma_f64 v[14:15], v[16:17], v[2:3], v[4:5]
	v_fma_f64 v[18:19], v[20:21], v[2:3], v[12:13]
	v_fma_f64 v[22:23], -v[16:17], v[2:3], v[4:5]
	v_fma_f64 v[24:25], v[20:21], v[2:3], -v[12:13]
	v_fma_f64 v[2:3], -v[20:21], v[0:1], v[14:15]
	v_fma_f64 v[4:5], v[16:17], v[0:1], v[18:19]
	v_fma_f64 v[12:13], v[20:21], v[0:1], v[22:23]
	;; [unrolled: 1-line block ×3, first 2 shown]
	ds_write_b128 v66, v[2:5] offset:352
	ds_write_b128 v7, v[12:15] offset:1760
	ds_read_b128 v[0:3], v66 offset:704
	ds_read_b128 v[12:15], v7 offset:1408
	s_waitcnt lgkmcnt(0)
	v_add_f64 v[4:5], v[0:1], v[12:13]
	v_add_f64 v[16:17], v[14:15], v[2:3]
	v_add_f64 v[12:13], v[0:1], -v[12:13]
	v_add_f64 v[0:1], v[2:3], -v[14:15]
	s_waitcnt vmcnt(0)
	v_fma_f64 v[2:3], v[12:13], v[10:11], v[4:5]
	v_fma_f64 v[14:15], v[16:17], v[10:11], v[0:1]
	v_fma_f64 v[4:5], -v[12:13], v[10:11], v[4:5]
	v_fma_f64 v[18:19], v[16:17], v[10:11], -v[0:1]
	v_fma_f64 v[0:1], -v[16:17], v[8:9], v[2:3]
	v_fma_f64 v[2:3], v[12:13], v[8:9], v[14:15]
	v_fma_f64 v[10:11], v[16:17], v[8:9], v[4:5]
	;; [unrolled: 1-line block ×3, first 2 shown]
	ds_write_b128 v66, v[0:3] offset:704
	ds_write_b128 v7, v[10:13] offset:1408
	s_waitcnt lgkmcnt(0)
	s_barrier
	s_barrier
	ds_read_b128 v[0:3], v66
	ds_read_b128 v[24:27], v67 offset:192
	ds_read_b128 v[32:35], v67 offset:384
	;; [unrolled: 1-line block ×10, first 2 shown]
	s_waitcnt lgkmcnt(0)
	s_barrier
	s_and_saveexec_b64 s[4:5], s[0:1]
	s_cbranch_execz .LBB0_18
; %bb.17:
	v_add_f64 v[58:59], v[2:3], v[26:27]
	v_add_f64 v[60:61], v[0:1], v[24:25]
	;; [unrolled: 1-line block ×3, first 2 shown]
	v_add_f64 v[62:63], v[36:37], -v[16:17]
	v_add_f64 v[77:78], v[38:39], -v[18:19]
	v_add_f64 v[56:57], v[30:31], v[22:23]
	v_add_f64 v[52:53], v[28:29], -v[20:21]
	v_add_f64 v[54:55], v[28:29], v[20:21]
	v_add_f64 v[71:72], v[58:59], v[34:35]
	v_add_f64 v[73:74], v[60:61], v[32:33]
	v_add_f64 v[60:61], v[36:37], v[16:17]
	v_add_f64 v[58:59], v[30:31], -v[22:23]
	s_mov_b32 s10, 0xfd768dbf
	s_mov_b32 s11, 0x3fd207e7
	;; [unrolled: 1-line block ×4, first 2 shown]
	v_add_f64 v[71:72], v[71:72], v[42:43]
	v_add_f64 v[73:74], v[73:74], v[40:41]
	v_add_f64 v[81:82], v[34:35], v[10:11]
	v_add_f64 v[34:35], v[34:35], -v[10:11]
	s_mov_b32 s6, 0x9bcd5057
	s_mov_b32 s12, 0xf8bb580b
	;; [unrolled: 1-line block ×4, first 2 shown]
	v_add_f64 v[38:39], v[71:72], v[38:39]
	v_add_f64 v[36:37], v[73:74], v[36:37]
	;; [unrolled: 1-line block ×3, first 2 shown]
	s_mov_b32 s21, 0x3fe14ced
	s_mov_b32 s20, s12
	v_add_f64 v[75:76], v[42:43], v[14:15]
	v_add_f64 v[79:80], v[40:41], -v[12:13]
	v_add_f64 v[40:41], v[40:41], v[12:13]
	v_add_f64 v[30:31], v[38:39], v[30:31]
	;; [unrolled: 1-line block ×3, first 2 shown]
	v_add_f64 v[38:39], v[26:27], -v[6:7]
	v_add_f64 v[36:37], v[24:25], v[4:5]
	v_add_f64 v[42:43], v[42:43], -v[14:15]
	v_add_f64 v[83:84], v[32:33], -v[8:9]
	v_add_f64 v[32:33], v[32:33], v[8:9]
	v_add_f64 v[73:74], v[24:25], -v[4:5]
	v_add_f64 v[22:23], v[30:31], v[22:23]
	v_add_f64 v[20:21], v[28:29], v[20:21]
	v_mul_f64 v[24:25], v[71:72], s[6:7]
	s_mov_b32 s0, 0x8764f0ba
	s_mov_b32 s1, 0x3feaeb8c
	v_mul_f64 v[26:27], v[81:82], s[0:1]
	s_mov_b32 s14, 0x7f775887
	s_mov_b32 s15, 0xbfe4f49e
	v_add_f64 v[18:19], v[22:23], v[18:19]
	v_add_f64 v[16:17], v[20:21], v[16:17]
	v_mul_f64 v[20:21], v[38:39], s[18:19]
	v_fma_f64 v[28:29], v[73:74], s[10:11], v[24:25]
	v_mul_f64 v[22:23], v[75:76], s[14:15]
	v_fma_f64 v[30:31], v[83:84], s[12:13], v[26:27]
	s_mov_b32 s16, 0xbb3a28a1
	s_mov_b32 s22, 0xd9c712b6
	v_add_f64 v[14:15], v[18:19], v[14:15]
	v_add_f64 v[12:13], v[16:17], v[12:13]
	v_fma_f64 v[16:17], v[36:37], s[6:7], v[20:21]
	v_mul_f64 v[18:19], v[34:35], s[20:21]
	v_add_f64 v[28:29], v[2:3], v[28:29]
	v_fma_f64 v[20:21], v[36:37], s[6:7], -v[20:21]
	s_mov_b32 s17, 0x3fe82f19
	s_mov_b32 s23, 0x3fda9628
	v_add_f64 v[10:11], v[14:15], v[10:11]
	v_add_f64 v[8:9], v[12:13], v[8:9]
	;; [unrolled: 1-line block ×3, first 2 shown]
	v_fma_f64 v[14:15], v[32:33], s[0:1], v[18:19]
	s_mov_b32 s25, 0xbfe82f19
	s_mov_b32 s24, s16
	v_mul_f64 v[85:86], v[69:70], s[22:23]
	v_add_f64 v[28:29], v[30:31], v[28:29]
	v_add_f64 v[6:7], v[10:11], v[6:7]
	v_fma_f64 v[30:31], v[79:80], s[16:17], v[22:23]
	v_mul_f64 v[16:17], v[42:43], s[24:25]
	v_add_f64 v[10:11], v[14:15], v[12:13]
	v_fma_f64 v[12:13], v[73:74], s[18:19], v[24:25]
	v_add_f64 v[4:5], v[8:9], v[4:5]
	v_fma_f64 v[8:9], v[83:84], s[20:21], v[26:27]
	v_fma_f64 v[18:19], v[32:33], s[0:1], -v[18:19]
	v_add_f64 v[20:21], v[0:1], v[20:21]
	s_mov_b32 s36, 0x8eee2c13
	s_mov_b32 s26, 0x640f44db
	;; [unrolled: 1-line block ×3, first 2 shown]
	v_add_f64 v[12:13], v[2:3], v[12:13]
	s_mov_b32 s29, 0x3fed1bb4
	s_mov_b32 s28, s36
	;; [unrolled: 1-line block ×3, first 2 shown]
	v_fma_f64 v[87:88], v[62:63], s[36:37], v[85:86]
	v_add_f64 v[28:29], v[30:31], v[28:29]
	v_fma_f64 v[14:15], v[40:41], s[14:15], v[16:17]
	v_mul_f64 v[24:25], v[77:78], s[28:29]
	v_add_f64 v[8:9], v[8:9], v[12:13]
	v_mul_f64 v[12:13], v[56:57], s[26:27]
	v_fma_f64 v[22:23], v[79:80], s[24:25], v[22:23]
	v_add_f64 v[18:19], v[18:19], v[20:21]
	v_fma_f64 v[16:17], v[40:41], s[14:15], -v[16:17]
	s_mov_b32 s30, 0x43842ef
	s_mov_b32 s31, 0x3fefac9e
	;; [unrolled: 1-line block ×4, first 2 shown]
	v_add_f64 v[26:27], v[87:88], v[28:29]
	v_add_f64 v[10:11], v[14:15], v[10:11]
	v_fma_f64 v[14:15], v[60:61], s[22:23], v[24:25]
	v_mul_f64 v[20:21], v[58:59], s[34:35]
	v_add_f64 v[8:9], v[22:23], v[8:9]
	v_fma_f64 v[22:23], v[52:53], s[30:31], v[12:13]
	v_mul_f64 v[28:29], v[71:72], s[14:15]
	v_add_f64 v[16:17], v[16:17], v[18:19]
	v_fma_f64 v[18:19], v[62:63], s[28:29], v[85:86]
	v_fma_f64 v[24:25], v[60:61], s[22:23], -v[24:25]
	v_add_f64 v[14:15], v[14:15], v[10:11]
	v_mul_f64 v[30:31], v[38:39], s[24:25]
	v_fma_f64 v[85:86], v[54:55], s[26:27], v[20:21]
	v_add_f64 v[10:11], v[22:23], v[26:27]
	v_fma_f64 v[22:23], v[73:74], s[16:17], v[28:29]
	v_mul_f64 v[26:27], v[81:82], s[26:27]
	v_add_f64 v[18:19], v[18:19], v[8:9]
	v_add_f64 v[16:17], v[24:25], v[16:17]
	v_fma_f64 v[12:13], v[52:53], s[34:35], v[12:13]
	v_fma_f64 v[20:21], v[54:55], s[26:27], -v[20:21]
	v_fma_f64 v[24:25], v[36:37], s[14:15], v[30:31]
	v_mul_f64 v[87:88], v[34:35], s[30:31]
	v_add_f64 v[22:23], v[2:3], v[22:23]
	v_fma_f64 v[89:90], v[83:84], s[34:35], v[26:27]
	v_add_f64 v[8:9], v[85:86], v[14:15]
	v_mul_f64 v[85:86], v[75:76], s[0:1]
	v_add_f64 v[14:15], v[12:13], v[18:19]
	v_add_f64 v[12:13], v[20:21], v[16:17]
	v_fma_f64 v[20:21], v[73:74], s[24:25], v[28:29]
	v_fma_f64 v[28:29], v[36:37], s[14:15], -v[30:31]
	v_add_f64 v[18:19], v[0:1], v[24:25]
	v_fma_f64 v[24:25], v[32:33], s[26:27], v[87:88]
	v_mul_f64 v[91:92], v[42:43], s[12:13]
	v_add_f64 v[16:17], v[89:90], v[22:23]
	v_fma_f64 v[22:23], v[79:80], s[20:21], v[85:86]
	v_mul_f64 v[30:31], v[69:70], s[6:7]
	v_fma_f64 v[26:27], v[83:84], s[30:31], v[26:27]
	v_add_f64 v[20:21], v[2:3], v[20:21]
	v_fma_f64 v[87:88], v[32:33], s[26:27], -v[87:88]
	v_add_f64 v[28:29], v[0:1], v[28:29]
	v_add_f64 v[18:19], v[24:25], v[18:19]
	v_fma_f64 v[24:25], v[40:41], s[0:1], v[91:92]
	v_mul_f64 v[89:90], v[77:78], s[18:19]
	v_add_f64 v[16:17], v[22:23], v[16:17]
	v_fma_f64 v[22:23], v[62:63], s[10:11], v[30:31]
	v_mul_f64 v[93:94], v[56:57], s[22:23]
	v_add_f64 v[20:21], v[26:27], v[20:21]
	v_fma_f64 v[26:27], v[79:80], s[12:13], v[85:86]
	v_add_f64 v[28:29], v[87:88], v[28:29]
	v_fma_f64 v[85:86], v[40:41], s[0:1], -v[91:92]
	v_add_f64 v[18:19], v[24:25], v[18:19]
	v_fma_f64 v[24:25], v[60:61], s[6:7], v[89:90]
	v_add_f64 v[16:17], v[22:23], v[16:17]
	v_fma_f64 v[22:23], v[52:53], s[36:37], v[93:94]
	v_mul_f64 v[87:88], v[71:72], s[26:27]
	v_mul_f64 v[91:92], v[58:59], s[28:29]
	v_add_f64 v[20:21], v[26:27], v[20:21]
	v_fma_f64 v[26:27], v[62:63], s[18:19], v[30:31]
	v_add_f64 v[28:29], v[85:86], v[28:29]
	v_fma_f64 v[30:31], v[60:61], s[6:7], -v[89:90]
	v_add_f64 v[24:25], v[24:25], v[18:19]
	v_add_f64 v[18:19], v[22:23], v[16:17]
	v_fma_f64 v[16:17], v[73:74], s[30:31], v[87:88]
	v_mul_f64 v[85:86], v[81:82], s[6:7]
	v_fma_f64 v[22:23], v[54:55], s[22:23], v[91:92]
	v_mul_f64 v[89:90], v[38:39], s[34:35]
	v_add_f64 v[20:21], v[26:27], v[20:21]
	v_fma_f64 v[26:27], v[52:53], s[28:29], v[93:94]
	v_add_f64 v[28:29], v[30:31], v[28:29]
	v_fma_f64 v[30:31], v[54:55], s[22:23], -v[91:92]
	v_add_f64 v[91:92], v[2:3], v[16:17]
	v_fma_f64 v[93:94], v[83:84], s[18:19], v[85:86]
	v_add_f64 v[16:17], v[22:23], v[24:25]
	v_fma_f64 v[24:25], v[36:37], s[26:27], v[89:90]
	v_mul_f64 v[95:96], v[34:35], s[10:11]
	v_add_f64 v[22:23], v[26:27], v[20:21]
	v_mul_f64 v[26:27], v[75:76], s[22:23]
	v_add_f64 v[20:21], v[30:31], v[28:29]
	v_fma_f64 v[28:29], v[73:74], s[34:35], v[87:88]
	v_add_f64 v[30:31], v[93:94], v[91:92]
	v_fma_f64 v[87:88], v[36:37], s[26:27], -v[89:90]
	v_add_f64 v[24:25], v[0:1], v[24:25]
	v_fma_f64 v[89:90], v[32:33], s[6:7], v[95:96]
	v_mul_f64 v[91:92], v[42:43], s[28:29]
	v_fma_f64 v[85:86], v[83:84], s[10:11], v[85:86]
	v_fma_f64 v[93:94], v[79:80], s[36:37], v[26:27]
	v_add_f64 v[28:29], v[2:3], v[28:29]
	v_fma_f64 v[95:96], v[32:33], s[6:7], -v[95:96]
	v_add_f64 v[87:88], v[0:1], v[87:88]
	v_mul_f64 v[97:98], v[69:70], s[0:1]
	v_add_f64 v[24:25], v[89:90], v[24:25]
	v_fma_f64 v[89:90], v[40:41], s[22:23], v[91:92]
	v_mul_f64 v[99:100], v[77:78], s[12:13]
	v_fma_f64 v[26:27], v[79:80], s[28:29], v[26:27]
	v_add_f64 v[28:29], v[85:86], v[28:29]
	v_add_f64 v[30:31], v[93:94], v[30:31]
	;; [unrolled: 1-line block ×3, first 2 shown]
	v_fma_f64 v[87:88], v[40:41], s[22:23], -v[91:92]
	v_fma_f64 v[91:92], v[62:63], s[20:21], v[97:98]
	v_add_f64 v[24:25], v[89:90], v[24:25]
	v_fma_f64 v[89:90], v[60:61], s[0:1], v[99:100]
	v_mul_f64 v[93:94], v[56:57], s[14:15]
	v_mul_f64 v[95:96], v[58:59], s[24:25]
	v_add_f64 v[26:27], v[26:27], v[28:29]
	v_fma_f64 v[28:29], v[62:63], s[12:13], v[97:98]
	v_add_f64 v[85:86], v[87:88], v[85:86]
	v_fma_f64 v[87:88], v[60:61], s[0:1], -v[99:100]
	v_add_f64 v[30:31], v[91:92], v[30:31]
	v_add_f64 v[24:25], v[89:90], v[24:25]
	v_fma_f64 v[89:90], v[52:53], s[16:17], v[93:94]
	v_fma_f64 v[91:92], v[54:55], s[14:15], v[95:96]
	v_mul_f64 v[97:98], v[71:72], s[0:1]
	v_add_f64 v[28:29], v[28:29], v[26:27]
	v_fma_f64 v[93:94], v[52:53], s[24:25], v[93:94]
	v_add_f64 v[85:86], v[87:88], v[85:86]
	v_fma_f64 v[87:88], v[54:55], s[14:15], -v[95:96]
	v_mul_f64 v[71:72], v[71:72], s[22:23]
	v_add_f64 v[26:27], v[89:90], v[30:31]
	v_add_f64 v[24:25], v[91:92], v[24:25]
	v_fma_f64 v[89:90], v[73:74], s[12:13], v[97:98]
	v_mul_f64 v[91:92], v[81:82], s[22:23]
	v_add_f64 v[30:31], v[93:94], v[28:29]
	v_mul_f64 v[93:94], v[38:39], s[12:13]
	v_add_f64 v[28:29], v[87:88], v[85:86]
	v_fma_f64 v[85:86], v[73:74], s[28:29], v[71:72]
	v_mul_f64 v[38:39], v[38:39], s[36:37]
	v_fma_f64 v[71:72], v[73:74], s[36:37], v[71:72]
	v_add_f64 v[87:88], v[2:3], v[89:90]
	v_fma_f64 v[89:90], v[83:84], s[36:37], v[91:92]
	v_mul_f64 v[95:96], v[75:76], s[26:27]
	v_fma_f64 v[99:100], v[36:37], s[0:1], -v[93:94]
	v_fma_f64 v[73:74], v[73:74], s[20:21], v[97:98]
	v_mul_f64 v[97:98], v[34:35], s[36:37]
	v_fma_f64 v[101:102], v[36:37], s[22:23], v[38:39]
	v_fma_f64 v[38:39], v[36:37], s[22:23], -v[38:39]
	v_fma_f64 v[36:37], v[36:37], s[0:1], v[93:94]
	v_add_f64 v[87:88], v[89:90], v[87:88]
	v_fma_f64 v[89:90], v[79:80], s[34:35], v[95:96]
	v_add_f64 v[93:94], v[0:1], v[99:100]
	v_mul_f64 v[99:100], v[69:70], s[14:15]
	v_fma_f64 v[103:104], v[32:33], s[22:23], -v[97:98]
	v_mul_f64 v[105:106], v[42:43], s[34:35]
	v_mul_f64 v[81:82], v[81:82], s[14:15]
	;; [unrolled: 1-line block ×3, first 2 shown]
	v_add_f64 v[85:86], v[2:3], v[85:86]
	v_add_f64 v[87:88], v[89:90], v[87:88]
	;; [unrolled: 1-line block ×3, first 2 shown]
	v_fma_f64 v[89:90], v[62:63], s[24:25], v[99:100]
	v_add_f64 v[93:94], v[103:104], v[93:94]
	v_fma_f64 v[103:104], v[40:41], s[26:27], -v[105:106]
	v_add_f64 v[71:72], v[2:3], v[71:72]
	v_add_f64 v[38:39], v[0:1], v[38:39]
	;; [unrolled: 1-line block ×4, first 2 shown]
	v_fma_f64 v[36:37], v[83:84], s[16:17], v[81:82]
	v_mul_f64 v[73:74], v[75:76], s[6:7]
	v_add_f64 v[75:76], v[89:90], v[87:88]
	v_add_f64 v[87:88], v[103:104], v[93:94]
	v_mul_f64 v[93:94], v[77:78], s[24:25]
	v_fma_f64 v[81:82], v[83:84], s[24:25], v[81:82]
	v_fma_f64 v[89:90], v[32:33], s[14:15], v[34:35]
	v_mul_f64 v[42:43], v[42:43], s[10:11]
	v_fma_f64 v[34:35], v[32:33], s[14:15], -v[34:35]
	v_add_f64 v[36:37], v[36:37], v[85:86]
	v_fma_f64 v[85:86], v[79:80], s[18:19], v[73:74]
	v_mul_f64 v[69:70], v[69:70], s[26:27]
	v_fma_f64 v[73:74], v[79:80], s[10:11], v[73:74]
	v_add_f64 v[71:72], v[81:82], v[71:72]
	v_fma_f64 v[81:82], v[60:61], s[14:15], -v[93:94]
	v_mul_f64 v[77:78], v[77:78], s[30:31]
	v_add_f64 v[34:35], v[34:35], v[38:39]
	v_fma_f64 v[38:39], v[40:41], s[6:7], -v[42:43]
	v_add_f64 v[89:90], v[89:90], v[101:102]
	v_fma_f64 v[101:102], v[40:41], s[6:7], v[42:43]
	v_fma_f64 v[42:43], v[62:63], s[34:35], v[69:70]
	v_add_f64 v[71:72], v[73:74], v[71:72]
	v_fma_f64 v[69:70], v[62:63], s[30:31], v[69:70]
	v_add_f64 v[73:74], v[81:82], v[87:88]
	;; [unrolled: 2-line block ×3, first 2 shown]
	v_fma_f64 v[38:39], v[60:61], s[26:27], -v[77:78]
	v_fma_f64 v[32:33], v[32:33], s[22:23], v[97:98]
	v_add_f64 v[36:37], v[85:86], v[36:37]
	v_add_f64 v[85:86], v[101:102], v[89:90]
	;; [unrolled: 1-line block ×3, first 2 shown]
	v_fma_f64 v[71:72], v[79:80], s[30:31], v[95:96]
	v_add_f64 v[2:3], v[81:82], v[2:3]
	v_fma_f64 v[89:90], v[60:61], s[26:27], v[77:78]
	v_add_f64 v[79:80], v[38:39], v[34:35]
	;; [unrolled: 2-line block ×3, first 2 shown]
	v_mul_f64 v[77:78], v[56:57], s[6:7]
	v_mul_f64 v[34:35], v[58:59], s[18:19]
	;; [unrolled: 1-line block ×4, first 2 shown]
	v_fma_f64 v[40:41], v[62:63], s[16:17], v[99:100]
	v_add_f64 v[2:3], v[71:72], v[2:3]
	v_fma_f64 v[60:61], v[60:61], s[14:15], v[93:94]
	v_add_f64 v[0:1], v[38:39], v[0:1]
	v_fma_f64 v[56:57], v[52:53], s[18:19], v[77:78]
	v_fma_f64 v[62:63], v[54:55], s[6:7], -v[34:35]
	v_add_f64 v[36:37], v[42:43], v[36:37]
	v_fma_f64 v[38:39], v[52:53], s[12:13], v[32:33]
	v_fma_f64 v[32:33], v[52:53], s[20:21], v[32:33]
	v_fma_f64 v[71:72], v[54:55], s[0:1], -v[58:59]
	v_add_f64 v[42:43], v[89:90], v[85:86]
	v_fma_f64 v[52:53], v[52:53], s[10:11], v[77:78]
	v_add_f64 v[40:41], v[40:41], v[2:3]
	v_fma_f64 v[58:59], v[54:55], s[0:1], v[58:59]
	v_fma_f64 v[54:55], v[54:55], s[6:7], v[34:35]
	v_add_f64 v[60:61], v[60:61], v[0:1]
	v_add_f64 v[2:3], v[56:57], v[75:76]
	;; [unrolled: 1-line block ×8, first 2 shown]
	v_mul_u32_u24_e32 v52, 0xa0, v46
	v_add3_u32 v52, v68, v52, v64
	v_add_f64 v[40:41], v[54:55], v[60:61]
	ds_write_b128 v52, v[4:7]
	ds_write_b128 v52, v[0:3] offset:16
	ds_write_b128 v52, v[36:39] offset:32
	;; [unrolled: 1-line block ×10, first 2 shown]
.LBB0_18:
	s_or_b64 exec, exec, s[4:5]
	v_add_u32_e32 v0, -11, v46
	v_cmp_gt_u32_e64 s[0:1], 11, v46
	v_cndmask_b32_e64 v52, v0, v46, s[0:1]
	v_mul_i32_i24_e32 v0, 5, v52
	v_mov_b32_e32 v1, v47
	v_lshlrev_b64 v[0:1], 4, v[0:1]
	v_mov_b32_e32 v62, s9
	v_add_co_u32_e64 v20, s[0:1], s8, v0
	v_addc_co_u32_e64 v21, s[0:1], v62, v1, s[0:1]
	s_waitcnt lgkmcnt(0)
	s_barrier
	global_load_dwordx4 v[0:3], v[20:21], off
	global_load_dwordx4 v[4:7], v[20:21], off offset:16
	global_load_dwordx4 v[8:11], v[20:21], off offset:32
	global_load_dwordx4 v[12:15], v[20:21], off offset:64
	global_load_dwordx4 v[16:19], v[20:21], off offset:48
	ds_read_b128 v[20:23], v66
	ds_read_b128 v[24:27], v67 offset:352
	ds_read_b128 v[28:31], v67 offset:704
	;; [unrolled: 1-line block ×5, first 2 shown]
	v_mov_b32_e32 v47, 0x420
	v_cmp_lt_u32_e64 s[0:1], 10, v46
	v_cndmask_b32_e64 v53, 0, v47, s[0:1]
	v_add_co_u32_e64 v47, s[0:1], s8, v48
	v_addc_co_u32_e64 v48, s[0:1], v62, v49, s[0:1]
	v_add_u32_e32 v49, 0, v53
	v_lshlrev_b32_e32 v52, 4, v52
	v_add3_u32 v49, v49, v52, v64
	s_mov_b32 s4, 0xe8584caa
	s_mov_b32 s5, 0x3febb67a
	;; [unrolled: 1-line block ×4, first 2 shown]
	s_waitcnt vmcnt(0) lgkmcnt(0)
	s_barrier
	v_mul_f64 v[52:53], v[26:27], v[2:3]
	v_mul_f64 v[2:3], v[24:25], v[2:3]
	;; [unrolled: 1-line block ×10, first 2 shown]
	v_fma_f64 v[32:33], v[32:33], v[8:9], -v[56:57]
	v_fma_f64 v[8:9], v[34:35], v[8:9], v[10:11]
	v_fma_f64 v[10:11], v[42:43], v[12:13], v[58:59]
	v_fma_f64 v[12:13], v[40:41], v[12:13], -v[14:15]
	v_fma_f64 v[28:29], v[28:29], v[4:5], -v[54:55]
	v_fma_f64 v[4:5], v[30:31], v[4:5], v[6:7]
	v_fma_f64 v[6:7], v[36:37], v[16:17], -v[60:61]
	v_fma_f64 v[14:15], v[38:39], v[16:17], v[18:19]
	;; [unrolled: 2-line block ×3, first 2 shown]
	v_add_f64 v[2:3], v[8:9], v[10:11]
	v_add_f64 v[18:19], v[32:33], v[12:13]
	;; [unrolled: 1-line block ×3, first 2 shown]
	v_add_f64 v[36:37], v[8:9], -v[10:11]
	v_add_f64 v[26:27], v[28:29], v[6:7]
	v_add_f64 v[38:39], v[32:33], -v[12:13]
	v_add_f64 v[30:31], v[4:5], -v[14:15]
	v_add_f64 v[34:35], v[22:23], v[4:5]
	v_fma_f64 v[2:3], v[2:3], -0.5, v[0:1]
	v_fma_f64 v[18:19], v[18:19], -0.5, v[16:17]
	v_add_f64 v[4:5], v[4:5], v[14:15]
	v_add_f64 v[28:29], v[28:29], -v[6:7]
	v_add_f64 v[0:1], v[0:1], v[8:9]
	v_add_f64 v[6:7], v[24:25], v[6:7]
	v_fma_f64 v[8:9], v[26:27], -0.5, v[20:21]
	v_add_f64 v[16:17], v[16:17], v[32:33]
	v_fma_f64 v[20:21], v[38:39], s[6:7], v[2:3]
	v_fma_f64 v[24:25], v[36:37], s[6:7], v[18:19]
	;; [unrolled: 1-line block ×4, first 2 shown]
	v_fma_f64 v[4:5], v[4:5], -0.5, v[22:23]
	v_add_f64 v[10:11], v[0:1], v[10:11]
	v_add_f64 v[14:15], v[34:35], v[14:15]
	;; [unrolled: 1-line block ×3, first 2 shown]
	v_mul_f64 v[0:1], v[20:21], s[4:5]
	v_mul_f64 v[16:17], v[24:25], -0.5
	v_mul_f64 v[22:23], v[18:19], s[6:7]
	v_mul_f64 v[26:27], v[2:3], -0.5
	v_fma_f64 v[32:33], v[30:31], s[4:5], v[8:9]
	v_fma_f64 v[34:35], v[28:29], s[6:7], v[4:5]
	;; [unrolled: 1-line block ×4, first 2 shown]
	v_fma_f64 v[18:19], v[18:19], 0.5, v[0:1]
	v_fma_f64 v[36:37], v[2:3], s[4:5], v[16:17]
	v_fma_f64 v[22:23], v[20:21], 0.5, v[22:23]
	v_fma_f64 v[24:25], v[24:25], s[6:7], v[26:27]
	v_add_f64 v[0:1], v[6:7], v[12:13]
	v_add_f64 v[2:3], v[14:15], v[10:11]
	v_add_f64 v[4:5], v[6:7], -v[12:13]
	v_add_f64 v[6:7], v[14:15], -v[10:11]
	v_add_f64 v[8:9], v[32:33], v[18:19]
	v_add_f64 v[12:13], v[30:31], v[36:37]
	;; [unrolled: 1-line block ×4, first 2 shown]
	v_add_f64 v[16:17], v[32:33], -v[18:19]
	v_add_f64 v[18:19], v[34:35], -v[22:23]
	;; [unrolled: 1-line block ×4, first 2 shown]
	ds_write_b128 v49, v[0:3]
	ds_write_b128 v49, v[4:7] offset:528
	ds_write_b128 v49, v[8:11] offset:176
	;; [unrolled: 1-line block ×5, first 2 shown]
	s_waitcnt lgkmcnt(0)
	s_barrier
	global_load_dwordx4 v[0:3], v[47:48], off offset:880
	v_add_co_u32_e64 v12, s[0:1], s8, v50
	v_addc_co_u32_e64 v13, s[0:1], v62, v51, s[0:1]
	global_load_dwordx4 v[4:7], v[12:13], off offset:1232
	global_load_dwordx4 v[8:11], v[12:13], off offset:1584
	ds_read_b128 v[12:15], v67 offset:1056
	ds_read_b128 v[16:19], v67 offset:1408
	;; [unrolled: 1-line block ×4, first 2 shown]
	ds_read_b128 v[28:31], v66
	ds_read_b128 v[32:35], v67 offset:352
	s_waitcnt vmcnt(0) lgkmcnt(0)
	s_barrier
	v_mul_f64 v[36:37], v[14:15], v[2:3]
	v_mul_f64 v[2:3], v[12:13], v[2:3]
	;; [unrolled: 1-line block ×6, first 2 shown]
	v_fma_f64 v[12:13], v[12:13], v[0:1], -v[36:37]
	v_fma_f64 v[2:3], v[14:15], v[0:1], v[2:3]
	v_fma_f64 v[14:15], v[16:17], v[4:5], -v[38:39]
	v_fma_f64 v[6:7], v[18:19], v[4:5], v[6:7]
	;; [unrolled: 2-line block ×3, first 2 shown]
	v_add_f64 v[0:1], v[28:29], -v[12:13]
	v_add_f64 v[2:3], v[30:31], -v[2:3]
	v_add_u32_e32 v24, v68, v64
	v_add_f64 v[4:5], v[32:33], -v[14:15]
	v_add_f64 v[6:7], v[34:35], -v[6:7]
	;; [unrolled: 1-line block ×4, first 2 shown]
	v_fma_f64 v[12:13], v[28:29], 2.0, -v[0:1]
	v_fma_f64 v[14:15], v[30:31], 2.0, -v[2:3]
	v_fma_f64 v[16:17], v[32:33], 2.0, -v[4:5]
	v_fma_f64 v[18:19], v[34:35], 2.0, -v[6:7]
	v_fma_f64 v[20:21], v[20:21], 2.0, -v[8:9]
	v_fma_f64 v[22:23], v[22:23], 2.0, -v[10:11]
	ds_write_b128 v67, v[0:3] offset:1056
	ds_write_b128 v24, v[4:7] offset:1408
	;; [unrolled: 1-line block ×3, first 2 shown]
	ds_write_b128 v67, v[12:15]
	ds_write_b128 v67, v[16:19] offset:352
	ds_write_b128 v67, v[20:23] offset:704
	s_waitcnt lgkmcnt(0)
	s_barrier
	s_and_saveexec_b64 s[0:1], vcc
	s_cbranch_execz .LBB0_20
; %bb.19:
	v_lshl_add_u32 v10, v46, 4, v65
	v_mov_b32_e32 v47, 0
	ds_read_b128 v[0:3], v10
	v_mov_b32_e32 v4, s3
	v_add_co_u32_e32 v11, vcc, s2, v44
	v_addc_co_u32_e32 v12, vcc, v4, v45, vcc
	v_lshlrev_b64 v[4:5], 4, v[46:47]
	v_add_co_u32_e32 v8, vcc, v11, v4
	v_addc_co_u32_e32 v9, vcc, v12, v5, vcc
	ds_read_b128 v[4:7], v10 offset:352
	s_waitcnt lgkmcnt(1)
	global_store_dwordx4 v[8:9], v[0:3], off
	s_nop 0
	v_add_u32_e32 v0, 22, v46
	v_mov_b32_e32 v1, v47
	v_lshlrev_b64 v[0:1], 4, v[0:1]
	v_add_co_u32_e32 v0, vcc, v11, v0
	v_addc_co_u32_e32 v1, vcc, v12, v1, vcc
	s_waitcnt lgkmcnt(0)
	global_store_dwordx4 v[0:1], v[4:7], off
	ds_read_b128 v[0:3], v10 offset:704
	v_add_u32_e32 v4, 44, v46
	v_mov_b32_e32 v5, v47
	v_lshlrev_b64 v[4:5], 4, v[4:5]
	v_add_co_u32_e32 v8, vcc, v11, v4
	v_addc_co_u32_e32 v9, vcc, v12, v5, vcc
	ds_read_b128 v[4:7], v10 offset:1056
	s_waitcnt lgkmcnt(1)
	global_store_dwordx4 v[8:9], v[0:3], off
	s_nop 0
	v_add_u32_e32 v0, 0x42, v46
	v_mov_b32_e32 v1, v47
	v_lshlrev_b64 v[0:1], 4, v[0:1]
	v_add_co_u32_e32 v0, vcc, v11, v0
	v_addc_co_u32_e32 v1, vcc, v12, v1, vcc
	s_waitcnt lgkmcnt(0)
	global_store_dwordx4 v[0:1], v[4:7], off
	ds_read_b128 v[0:3], v10 offset:1408
	v_add_u32_e32 v4, 0x58, v46
	v_mov_b32_e32 v5, v47
	v_lshlrev_b64 v[4:5], 4, v[4:5]
	v_add_u32_e32 v46, 0x6e, v46
	v_add_co_u32_e32 v8, vcc, v11, v4
	v_addc_co_u32_e32 v9, vcc, v12, v5, vcc
	ds_read_b128 v[4:7], v10 offset:1760
	s_waitcnt lgkmcnt(1)
	global_store_dwordx4 v[8:9], v[0:3], off
	s_nop 0
	v_lshlrev_b64 v[0:1], 4, v[46:47]
	v_add_co_u32_e32 v0, vcc, v11, v0
	v_addc_co_u32_e32 v1, vcc, v12, v1, vcc
	s_waitcnt lgkmcnt(0)
	global_store_dwordx4 v[0:1], v[4:7], off
.LBB0_20:
	s_endpgm
	.section	.rodata,"a",@progbits
	.p2align	6, 0x0
	.amdhsa_kernel fft_rtc_fwd_len132_factors_11_6_2_wgs_110_tpt_22_dp_ip_CI_unitstride_sbrr_C2R_dirReg
		.amdhsa_group_segment_fixed_size 0
		.amdhsa_private_segment_fixed_size 0
		.amdhsa_kernarg_size 88
		.amdhsa_user_sgpr_count 6
		.amdhsa_user_sgpr_private_segment_buffer 1
		.amdhsa_user_sgpr_dispatch_ptr 0
		.amdhsa_user_sgpr_queue_ptr 0
		.amdhsa_user_sgpr_kernarg_segment_ptr 1
		.amdhsa_user_sgpr_dispatch_id 0
		.amdhsa_user_sgpr_flat_scratch_init 0
		.amdhsa_user_sgpr_private_segment_size 0
		.amdhsa_uses_dynamic_stack 0
		.amdhsa_system_sgpr_private_segment_wavefront_offset 0
		.amdhsa_system_sgpr_workgroup_id_x 1
		.amdhsa_system_sgpr_workgroup_id_y 0
		.amdhsa_system_sgpr_workgroup_id_z 0
		.amdhsa_system_sgpr_workgroup_info 0
		.amdhsa_system_vgpr_workitem_id 0
		.amdhsa_next_free_vgpr 107
		.amdhsa_next_free_sgpr 38
		.amdhsa_reserve_vcc 1
		.amdhsa_reserve_flat_scratch 0
		.amdhsa_float_round_mode_32 0
		.amdhsa_float_round_mode_16_64 0
		.amdhsa_float_denorm_mode_32 3
		.amdhsa_float_denorm_mode_16_64 3
		.amdhsa_dx10_clamp 1
		.amdhsa_ieee_mode 1
		.amdhsa_fp16_overflow 0
		.amdhsa_exception_fp_ieee_invalid_op 0
		.amdhsa_exception_fp_denorm_src 0
		.amdhsa_exception_fp_ieee_div_zero 0
		.amdhsa_exception_fp_ieee_overflow 0
		.amdhsa_exception_fp_ieee_underflow 0
		.amdhsa_exception_fp_ieee_inexact 0
		.amdhsa_exception_int_div_zero 0
	.end_amdhsa_kernel
	.text
.Lfunc_end0:
	.size	fft_rtc_fwd_len132_factors_11_6_2_wgs_110_tpt_22_dp_ip_CI_unitstride_sbrr_C2R_dirReg, .Lfunc_end0-fft_rtc_fwd_len132_factors_11_6_2_wgs_110_tpt_22_dp_ip_CI_unitstride_sbrr_C2R_dirReg
                                        ; -- End function
	.section	.AMDGPU.csdata,"",@progbits
; Kernel info:
; codeLenInByte = 6360
; NumSgprs: 42
; NumVgprs: 107
; ScratchSize: 0
; MemoryBound: 0
; FloatMode: 240
; IeeeMode: 1
; LDSByteSize: 0 bytes/workgroup (compile time only)
; SGPRBlocks: 5
; VGPRBlocks: 26
; NumSGPRsForWavesPerEU: 42
; NumVGPRsForWavesPerEU: 107
; Occupancy: 2
; WaveLimiterHint : 1
; COMPUTE_PGM_RSRC2:SCRATCH_EN: 0
; COMPUTE_PGM_RSRC2:USER_SGPR: 6
; COMPUTE_PGM_RSRC2:TRAP_HANDLER: 0
; COMPUTE_PGM_RSRC2:TGID_X_EN: 1
; COMPUTE_PGM_RSRC2:TGID_Y_EN: 0
; COMPUTE_PGM_RSRC2:TGID_Z_EN: 0
; COMPUTE_PGM_RSRC2:TIDIG_COMP_CNT: 0
	.type	__hip_cuid_9acf9cc66d163858,@object ; @__hip_cuid_9acf9cc66d163858
	.section	.bss,"aw",@nobits
	.globl	__hip_cuid_9acf9cc66d163858
__hip_cuid_9acf9cc66d163858:
	.byte	0                               ; 0x0
	.size	__hip_cuid_9acf9cc66d163858, 1

	.ident	"AMD clang version 19.0.0git (https://github.com/RadeonOpenCompute/llvm-project roc-6.4.0 25133 c7fe45cf4b819c5991fe208aaa96edf142730f1d)"
	.section	".note.GNU-stack","",@progbits
	.addrsig
	.addrsig_sym __hip_cuid_9acf9cc66d163858
	.amdgpu_metadata
---
amdhsa.kernels:
  - .args:
      - .actual_access:  read_only
        .address_space:  global
        .offset:         0
        .size:           8
        .value_kind:     global_buffer
      - .offset:         8
        .size:           8
        .value_kind:     by_value
      - .actual_access:  read_only
        .address_space:  global
        .offset:         16
        .size:           8
        .value_kind:     global_buffer
      - .actual_access:  read_only
        .address_space:  global
        .offset:         24
        .size:           8
        .value_kind:     global_buffer
      - .offset:         32
        .size:           8
        .value_kind:     by_value
      - .actual_access:  read_only
        .address_space:  global
        .offset:         40
        .size:           8
        .value_kind:     global_buffer
      - .actual_access:  read_only
        .address_space:  global
        .offset:         48
        .size:           8
        .value_kind:     global_buffer
      - .offset:         56
        .size:           4
        .value_kind:     by_value
      - .actual_access:  read_only
        .address_space:  global
        .offset:         64
        .size:           8
        .value_kind:     global_buffer
      - .actual_access:  read_only
        .address_space:  global
        .offset:         72
        .size:           8
        .value_kind:     global_buffer
      - .address_space:  global
        .offset:         80
        .size:           8
        .value_kind:     global_buffer
    .group_segment_fixed_size: 0
    .kernarg_segment_align: 8
    .kernarg_segment_size: 88
    .language:       OpenCL C
    .language_version:
      - 2
      - 0
    .max_flat_workgroup_size: 110
    .name:           fft_rtc_fwd_len132_factors_11_6_2_wgs_110_tpt_22_dp_ip_CI_unitstride_sbrr_C2R_dirReg
    .private_segment_fixed_size: 0
    .sgpr_count:     42
    .sgpr_spill_count: 0
    .symbol:         fft_rtc_fwd_len132_factors_11_6_2_wgs_110_tpt_22_dp_ip_CI_unitstride_sbrr_C2R_dirReg.kd
    .uniform_work_group_size: 1
    .uses_dynamic_stack: false
    .vgpr_count:     107
    .vgpr_spill_count: 0
    .wavefront_size: 64
amdhsa.target:   amdgcn-amd-amdhsa--gfx906
amdhsa.version:
  - 1
  - 2
...

	.end_amdgpu_metadata
